;; amdgpu-corpus repo=zjin-lcf/HeCBench kind=compiled arch=gfx1100 opt=O3
	.text
	.amdgcn_target "amdgcn-amd-amdhsa--gfx1100"
	.amdhsa_code_object_version 6
	.protected	_Z6reducePKfPdmm        ; -- Begin function _Z6reducePKfPdmm
	.globl	_Z6reducePKfPdmm
	.p2align	8
	.type	_Z6reducePKfPdmm,@function
_Z6reducePKfPdmm:                       ; @_Z6reducePKfPdmm
; %bb.0:
	s_clause 0x1
	s_load_b64 s[12:13], s[0:1], 0x2c
	s_load_b256 s[4:11], s[0:1], 0x0
	v_dual_mov_b32 v6, 0 :: v_dual_and_b32 v5, 0x3ff, v0
	s_add_u32 s0, s0, 32
	s_mov_b32 s2, s15
	s_addc_u32 s1, s1, 0
	v_mov_b32_e32 v1, 0
	v_mov_b32_e32 v2, 0
	s_mov_b32 s3, 0
	s_mov_b32 s17, exec_lo
	s_waitcnt lgkmcnt(0)
	s_and_b32 s16, s12, 0xffff
	s_and_b32 s13, s13, 0xffff
	v_mad_u64_u32 v[3:4], null, s16, s2, v[5:6]
	s_delay_alu instid0(VALU_DEP_1)
	v_cmpx_gt_u64_e64 s[8:9], v[3:4]
	s_cbranch_execz .LBB0_4
; %bb.1:
	s_load_b32 s0, s[0:1], 0x0
	v_lshlrev_b64 v[6:7], 2, v[3:4]
	v_mov_b32_e32 v1, 0
	v_mov_b32_e32 v2, 0
	s_mov_b32 s15, s3
	s_mov_b32 s1, s3
	s_delay_alu instid0(VALU_DEP_3) | instskip(SKIP_3) | instid1(SALU_CYCLE_1)
	v_add_co_u32 v6, vcc_lo, s4, v6
	v_add_co_ci_u32_e32 v7, vcc_lo, s5, v7, vcc_lo
	s_waitcnt lgkmcnt(0)
	s_mul_i32 s14, s0, s16
	s_lshl_b64 s[4:5], s[14:15], 2
.LBB0_2:                                ; =>This Inner Loop Header: Depth=1
	global_load_b32 v8, v[6:7], off
	v_add_co_u32 v3, vcc_lo, v3, s14
	v_add_co_ci_u32_e32 v4, vcc_lo, 0, v4, vcc_lo
	v_add_co_u32 v6, s0, v6, s4
	s_delay_alu instid0(VALU_DEP_1) | instskip(NEXT) | instid1(VALU_DEP_3)
	v_add_co_ci_u32_e64 v7, s0, s5, v7, s0
	v_cmp_le_u64_e32 vcc_lo, s[8:9], v[3:4]
	s_or_b32 s1, vcc_lo, s1
	s_waitcnt vmcnt(0)
	v_cvt_f64_f32_e32 v[8:9], v8
	s_delay_alu instid0(VALU_DEP_1)
	v_add_f64 v[1:2], v[1:2], v[8:9]
	s_and_not1_b32 exec_lo, exec_lo, s1
	s_cbranch_execnz .LBB0_2
; %bb.3:
	s_or_b32 exec_lo, exec_lo, s1
.LBB0_4:
	s_delay_alu instid0(SALU_CYCLE_1) | instskip(SKIP_4) | instid1(VALU_DEP_1)
	s_or_b32 exec_lo, exec_lo, s17
	v_bfe_u32 v3, v0, 10, 10
	v_bfe_u32 v0, v0, 20, 10
	s_lshr_b32 s0, s12, 16
	s_mov_b32 s1, exec_lo
	v_mad_u32_u24 v0, v0, s0, v3
	s_delay_alu instid0(VALU_DEP_1) | instskip(NEXT) | instid1(VALU_DEP_1)
	v_mad_u64_u32 v[3:4], null, v0, s16, v[5:6]
	v_and_b32_e32 v4, 31, v3
	v_lshlrev_b32_e32 v0, 3, v3
	ds_store_b64 v0, v[1:2]
	s_waitcnt lgkmcnt(0)
	s_barrier
	buffer_gl0_inv
	v_cmpx_gt_u32_e32 16, v4
	s_cbranch_execz .LBB0_6
; %bb.5:
	ds_load_b64 v[5:6], v0 offset:128
	s_waitcnt lgkmcnt(0)
	v_add_f64 v[1:2], v[1:2], v[5:6]
	ds_store_b64 v0, v[1:2]
.LBB0_6:
	s_or_b32 exec_lo, exec_lo, s1
	s_delay_alu instid0(SALU_CYCLE_1)
	s_mov_b32 s1, exec_lo
	s_waitcnt lgkmcnt(0)
	buffer_gl1_inv
	buffer_gl0_inv
	v_cmpx_gt_u32_e32 8, v4
	s_cbranch_execz .LBB0_8
; %bb.7:
	ds_load_b64 v[5:6], v0 offset:64
	s_waitcnt lgkmcnt(0)
	v_add_f64 v[1:2], v[1:2], v[5:6]
	ds_store_b64 v0, v[1:2]
.LBB0_8:
	s_or_b32 exec_lo, exec_lo, s1
	s_delay_alu instid0(SALU_CYCLE_1)
	s_mov_b32 s1, exec_lo
	s_waitcnt lgkmcnt(0)
	buffer_gl1_inv
	;; [unrolled: 14-line block ×4, first 2 shown]
	buffer_gl0_inv
	v_cmpx_eq_u32_e32 0, v4
	s_cbranch_execz .LBB0_14
; %bb.13:
	ds_load_b64 v[4:5], v0 offset:8
	s_waitcnt lgkmcnt(0)
	v_add_f64 v[1:2], v[1:2], v[4:5]
	ds_store_b64 v0, v[1:2]
.LBB0_14:
	s_or_b32 exec_lo, exec_lo, s1
	v_cmp_lt_u64_e64 s1, s[2:3], s[10:11]
	v_cmp_eq_u32_e32 vcc_lo, 0, v3
	s_waitcnt lgkmcnt(0)
	buffer_gl1_inv
	buffer_gl0_inv
	s_barrier
	buffer_gl0_inv
	s_and_b32 s1, s1, vcc_lo
	s_delay_alu instid0(SALU_CYCLE_1)
	s_and_saveexec_b32 s4, s1
	s_cbranch_execz .LBB0_24
; %bb.15:
	s_mul_i32 s4, s0, s16
	s_and_b32 s0, s13, 0xffff
	s_delay_alu instid0(SALU_CYCLE_1)
	s_mul_i32 s4, s4, s0
	s_mov_b32 s0, 0
	s_cmp_eq_u32 s4, 0
	s_cbranch_scc1 .LBB0_22
; %bb.16:
	s_add_i32 s1, s4, -1
	v_mov_b32_e32 v0, 0
	s_lshr_b32 s1, s1, 5
	v_mov_b32_e32 v1, 0
	s_add_i32 s1, s1, 1
	s_cmpk_lt_u32 s4, 0xe1
	s_cbranch_scc1 .LBB0_19
; %bb.17:
	s_and_b32 s4, s1, 0xffffff8
	s_mov_b32 s5, 0
	.p2align	6
.LBB0_18:                               ; =>This Inner Loop Header: Depth=1
	s_delay_alu instid0(SALU_CYCLE_1)
	v_mov_b32_e32 v6, s5
	s_add_i32 s4, s4, -8
	s_addk_i32 s0, 0x100
	s_addk_i32 s5, 0x800
	s_cmp_eq_u32 s4, 0
	ds_load_2addr_b64 v[2:5], v6 offset1:32
	s_waitcnt lgkmcnt(0)
	v_add_f64 v[0:1], v[0:1], v[2:3]
	s_delay_alu instid0(VALU_DEP_1) | instskip(SKIP_3) | instid1(VALU_DEP_1)
	v_add_f64 v[4:5], v[0:1], v[4:5]
	ds_load_2addr_b64 v[0:3], v6 offset0:64 offset1:96
	s_waitcnt lgkmcnt(0)
	v_add_f64 v[0:1], v[4:5], v[0:1]
	v_add_f64 v[4:5], v[0:1], v[2:3]
	ds_load_2addr_b64 v[0:3], v6 offset0:128 offset1:160
	s_waitcnt lgkmcnt(0)
	v_add_f64 v[0:1], v[4:5], v[0:1]
	s_delay_alu instid0(VALU_DEP_1) | instskip(SKIP_3) | instid1(VALU_DEP_1)
	v_add_f64 v[4:5], v[0:1], v[2:3]
	ds_load_2addr_b64 v[0:3], v6 offset0:192 offset1:224
	s_waitcnt lgkmcnt(0)
	v_add_f64 v[0:1], v[4:5], v[0:1]
	v_add_f64 v[0:1], v[0:1], v[2:3]
	s_cbranch_scc0 .LBB0_18
.LBB0_19:
	s_and_b32 s1, s1, 7
	s_delay_alu instid0(SALU_CYCLE_1)
	s_cmp_eq_u32 s1, 0
	s_cbranch_scc1 .LBB0_23
; %bb.20:
	s_lshl_b32 s0, s0, 3
.LBB0_21:                               ; =>This Inner Loop Header: Depth=1
	s_delay_alu instid0(SALU_CYCLE_1)
	v_mov_b32_e32 v2, s0
	s_add_i32 s1, s1, -1
	s_addk_i32 s0, 0x100
	s_cmp_lg_u32 s1, 0
	ds_load_b64 v[2:3], v2
	s_waitcnt lgkmcnt(0)
	v_add_f64 v[0:1], v[0:1], v[2:3]
	s_cbranch_scc1 .LBB0_21
	s_branch .LBB0_23
.LBB0_22:
	v_mov_b32_e32 v0, 0
	v_mov_b32_e32 v1, 0
.LBB0_23:
	s_lshl_b64 s[0:1], s[2:3], 3
	v_mov_b32_e32 v2, 0
	s_add_u32 s0, s6, s0
	s_addc_u32 s1, s7, s1
	global_store_b64 v2, v[0:1], s[0:1]
.LBB0_24:
	s_nop 0
	s_sendmsg sendmsg(MSG_DEALLOC_VGPRS)
	s_endpgm
	.section	.rodata,"a",@progbits
	.p2align	6, 0x0
	.amdhsa_kernel _Z6reducePKfPdmm
		.amdhsa_group_segment_fixed_size 2048
		.amdhsa_private_segment_fixed_size 0
		.amdhsa_kernarg_size 288
		.amdhsa_user_sgpr_count 15
		.amdhsa_user_sgpr_dispatch_ptr 0
		.amdhsa_user_sgpr_queue_ptr 0
		.amdhsa_user_sgpr_kernarg_segment_ptr 1
		.amdhsa_user_sgpr_dispatch_id 0
		.amdhsa_user_sgpr_private_segment_size 0
		.amdhsa_wavefront_size32 1
		.amdhsa_uses_dynamic_stack 0
		.amdhsa_enable_private_segment 0
		.amdhsa_system_sgpr_workgroup_id_x 1
		.amdhsa_system_sgpr_workgroup_id_y 0
		.amdhsa_system_sgpr_workgroup_id_z 0
		.amdhsa_system_sgpr_workgroup_info 0
		.amdhsa_system_vgpr_workitem_id 2
		.amdhsa_next_free_vgpr 10
		.amdhsa_next_free_sgpr 18
		.amdhsa_reserve_vcc 1
		.amdhsa_float_round_mode_32 0
		.amdhsa_float_round_mode_16_64 0
		.amdhsa_float_denorm_mode_32 3
		.amdhsa_float_denorm_mode_16_64 3
		.amdhsa_dx10_clamp 1
		.amdhsa_ieee_mode 1
		.amdhsa_fp16_overflow 0
		.amdhsa_workgroup_processor_mode 1
		.amdhsa_memory_ordered 1
		.amdhsa_forward_progress 0
		.amdhsa_shared_vgpr_count 0
		.amdhsa_exception_fp_ieee_invalid_op 0
		.amdhsa_exception_fp_denorm_src 0
		.amdhsa_exception_fp_ieee_div_zero 0
		.amdhsa_exception_fp_ieee_overflow 0
		.amdhsa_exception_fp_ieee_underflow 0
		.amdhsa_exception_fp_ieee_inexact 0
		.amdhsa_exception_int_div_zero 0
	.end_amdhsa_kernel
	.text
.Lfunc_end0:
	.size	_Z6reducePKfPdmm, .Lfunc_end0-_Z6reducePKfPdmm
                                        ; -- End function
	.section	.AMDGPU.csdata,"",@progbits
; Kernel info:
; codeLenInByte = 1032
; NumSgprs: 20
; NumVgprs: 10
; ScratchSize: 0
; MemoryBound: 0
; FloatMode: 240
; IeeeMode: 1
; LDSByteSize: 2048 bytes/workgroup (compile time only)
; SGPRBlocks: 2
; VGPRBlocks: 1
; NumSGPRsForWavesPerEU: 20
; NumVGPRsForWavesPerEU: 10
; Occupancy: 16
; WaveLimiterHint : 0
; COMPUTE_PGM_RSRC2:SCRATCH_EN: 0
; COMPUTE_PGM_RSRC2:USER_SGPR: 15
; COMPUTE_PGM_RSRC2:TRAP_HANDLER: 0
; COMPUTE_PGM_RSRC2:TGID_X_EN: 1
; COMPUTE_PGM_RSRC2:TGID_Y_EN: 0
; COMPUTE_PGM_RSRC2:TGID_Z_EN: 0
; COMPUTE_PGM_RSRC2:TIDIG_COMP_CNT: 2
	.text
	.protected	_Z11reduceFinalPKdPdm   ; -- Begin function _Z11reduceFinalPKdPdm
	.globl	_Z11reduceFinalPKdPdm
	.p2align	8
	.type	_Z11reduceFinalPKdPdm,@function
_Z11reduceFinalPKdPdm:                  ; @_Z11reduceFinalPKdPdm
; %bb.0:
	s_clause 0x2
	s_load_b32 s11, s[0:1], 0x24
	s_load_b64 s[2:3], s[0:1], 0x10
	s_load_b128 s[4:7], s[0:1], 0x0
	v_dual_mov_b32 v6, 0 :: v_dual_and_b32 v5, 0x3ff, v0
	s_add_u32 s0, s0, 24
	s_addc_u32 s1, s1, 0
	v_mov_b32_e32 v1, 0
	v_mov_b32_e32 v2, 0
	s_mov_b32 s12, exec_lo
	s_waitcnt lgkmcnt(0)
	s_and_b32 s10, s11, 0xffff
	s_delay_alu instid0(SALU_CYCLE_1) | instskip(NEXT) | instid1(VALU_DEP_1)
	v_mad_u64_u32 v[3:4], null, s10, s15, v[5:6]
	v_cmpx_gt_u64_e64 s[2:3], v[3:4]
	s_cbranch_execz .LBB1_4
; %bb.1:
	s_load_b32 s0, s[0:1], 0x0
	v_lshlrev_b64 v[6:7], 3, v[3:4]
	v_mov_b32_e32 v1, 0
	v_mov_b32_e32 v2, 0
	s_delay_alu instid0(VALU_DEP_3) | instskip(NEXT) | instid1(VALU_DEP_4)
	v_add_co_u32 v6, vcc_lo, s4, v6
	v_add_co_ci_u32_e32 v7, vcc_lo, s5, v7, vcc_lo
	s_mov_b32 s5, 0
	s_waitcnt lgkmcnt(0)
	s_mul_i32 s4, s0, s10
	s_delay_alu instid0(SALU_CYCLE_1)
	s_lshl_b64 s[8:9], s[4:5], 3
.LBB1_2:                                ; =>This Inner Loop Header: Depth=1
	global_load_b64 v[8:9], v[6:7], off
	v_add_co_u32 v3, vcc_lo, v3, s4
	v_add_co_ci_u32_e32 v4, vcc_lo, 0, v4, vcc_lo
	v_add_co_u32 v6, s0, v6, s8
	s_delay_alu instid0(VALU_DEP_1) | instskip(NEXT) | instid1(VALU_DEP_3)
	v_add_co_ci_u32_e64 v7, s0, s9, v7, s0
	v_cmp_le_u64_e32 vcc_lo, s[2:3], v[3:4]
	s_or_b32 s5, vcc_lo, s5
	s_waitcnt vmcnt(0)
	v_add_f64 v[1:2], v[1:2], v[8:9]
	s_and_not1_b32 exec_lo, exec_lo, s5
	s_cbranch_execnz .LBB1_2
; %bb.3:
	s_or_b32 exec_lo, exec_lo, s5
.LBB1_4:
	s_delay_alu instid0(SALU_CYCLE_1) | instskip(SKIP_4) | instid1(VALU_DEP_1)
	s_or_b32 exec_lo, exec_lo, s12
	v_bfe_u32 v3, v0, 10, 10
	v_bfe_u32 v0, v0, 20, 10
	s_lshr_b32 s0, s11, 16
	s_cmpk_gt_u32 s10, 0x1ff
	v_mad_u32_u24 v0, v0, s0, v3
	s_cselect_b32 s0, -1, 0
	s_delay_alu instid0(VALU_DEP_1) | instskip(NEXT) | instid1(VALU_DEP_1)
	v_mad_u64_u32 v[3:4], null, v0, s10, v[5:6]
	v_cmp_gt_u32_e32 vcc_lo, 0x100, v3
	v_lshlrev_b32_e32 v0, 3, v3
	s_and_b32 s1, s0, vcc_lo
	ds_store_b64 v0, v[1:2]
	s_waitcnt lgkmcnt(0)
	s_barrier
	buffer_gl0_inv
	s_and_saveexec_b32 s0, s1
	s_cbranch_execz .LBB1_6
; %bb.5:
	ds_load_b64 v[4:5], v0 offset:2048
	s_waitcnt lgkmcnt(0)
	v_add_f64 v[1:2], v[1:2], v[4:5]
	ds_store_b64 v0, v[1:2]
.LBB1_6:
	s_or_b32 exec_lo, exec_lo, s0
	v_cmp_gt_u32_e32 vcc_lo, 0x80, v3
	s_cmpk_gt_u32 s10, 0xff
	s_waitcnt lgkmcnt(0)
	s_cselect_b32 s0, -1, 0
	s_barrier
	s_and_b32 s1, s0, vcc_lo
	buffer_gl0_inv
	s_and_saveexec_b32 s0, s1
	s_cbranch_execz .LBB1_8
; %bb.7:
	ds_load_b64 v[4:5], v0 offset:1024
	s_waitcnt lgkmcnt(0)
	v_add_f64 v[1:2], v[1:2], v[4:5]
	ds_store_b64 v0, v[1:2]
.LBB1_8:
	s_or_b32 exec_lo, exec_lo, s0
	v_cmp_gt_u32_e32 vcc_lo, 64, v3
	s_cmpk_gt_u32 s10, 0x7f
	s_waitcnt lgkmcnt(0)
	s_cselect_b32 s0, -1, 0
	s_barrier
	s_and_b32 s1, s0, vcc_lo
	buffer_gl0_inv
	s_and_saveexec_b32 s0, s1
	s_cbranch_execz .LBB1_10
; %bb.9:
	ds_load_b64 v[4:5], v0 offset:512
	s_waitcnt lgkmcnt(0)
	v_add_f64 v[1:2], v[1:2], v[4:5]
	ds_store_b64 v0, v[1:2]
.LBB1_10:
	s_or_b32 exec_lo, exec_lo, s0
	s_delay_alu instid0(SALU_CYCLE_1)
	s_mov_b32 s0, exec_lo
	s_waitcnt lgkmcnt(0)
	s_barrier
	buffer_gl0_inv
	v_cmpx_gt_u32_e32 32, v3
	s_cbranch_execz .LBB1_14
; %bb.11:
	s_cmp_lt_u32 s10, 64
	s_cbranch_scc1 .LBB1_13
; %bb.12:
	ds_load_b64 v[4:5], v0 offset:256
	s_waitcnt lgkmcnt(0)
	v_add_f64 v[1:2], v[1:2], v[4:5]
.LBB1_13:
	v_mbcnt_lo_u32_b32 v6, -1, 0
	s_delay_alu instid0(VALU_DEP_1) | instskip(SKIP_2) | instid1(VALU_DEP_2)
	v_cmp_gt_u32_e32 vcc_lo, 16, v6
	v_cndmask_b32_e64 v0, 0, 1, vcc_lo
	v_cmp_gt_u32_e32 vcc_lo, 24, v6
	v_lshlrev_b32_e32 v0, 4, v0
	s_delay_alu instid0(VALU_DEP_1)
	v_add_lshl_u32 v0, v0, v6, 2
	ds_bpermute_b32 v4, v0, v1
	ds_bpermute_b32 v5, v0, v2
	s_waitcnt lgkmcnt(0)
	v_add_f64 v[0:1], v[1:2], v[4:5]
	v_cndmask_b32_e64 v2, 0, 1, vcc_lo
	v_cmp_gt_u32_e32 vcc_lo, 28, v6
	s_delay_alu instid0(VALU_DEP_2) | instskip(NEXT) | instid1(VALU_DEP_1)
	v_lshlrev_b32_e32 v2, 3, v2
	v_add_lshl_u32 v2, v2, v6, 2
	ds_bpermute_b32 v4, v2, v0
	ds_bpermute_b32 v5, v2, v1
	v_cndmask_b32_e64 v2, 0, 1, vcc_lo
	v_cmp_gt_u32_e32 vcc_lo, 30, v6
	s_delay_alu instid0(VALU_DEP_2) | instskip(NEXT) | instid1(VALU_DEP_1)
	v_lshlrev_b32_e32 v2, 2, v2
	v_add_lshl_u32 v2, v2, v6, 2
	s_waitcnt lgkmcnt(0)
	v_add_f64 v[0:1], v[0:1], v[4:5]
	ds_bpermute_b32 v4, v2, v0
	ds_bpermute_b32 v5, v2, v1
	v_cndmask_b32_e64 v2, 0, 1, vcc_lo
	v_cmp_ne_u32_e32 vcc_lo, 31, v6
	s_delay_alu instid0(VALU_DEP_2) | instskip(NEXT) | instid1(VALU_DEP_1)
	v_lshlrev_b32_e32 v2, 1, v2
	v_add_lshl_u32 v2, v2, v6, 2
	s_waitcnt lgkmcnt(0)
	v_add_f64 v[0:1], v[0:1], v[4:5]
	ds_bpermute_b32 v4, v2, v0
	ds_bpermute_b32 v5, v2, v1
	v_add_co_ci_u32_e32 v2, vcc_lo, 0, v6, vcc_lo
	s_delay_alu instid0(VALU_DEP_1)
	v_lshlrev_b32_e32 v2, 2, v2
	s_waitcnt lgkmcnt(0)
	v_add_f64 v[0:1], v[0:1], v[4:5]
	ds_bpermute_b32 v4, v2, v0
	ds_bpermute_b32 v5, v2, v1
	s_waitcnt lgkmcnt(0)
	v_add_f64 v[1:2], v[0:1], v[4:5]
.LBB1_14:
	s_or_b32 exec_lo, exec_lo, s0
	s_delay_alu instid0(SALU_CYCLE_1)
	s_mov_b32 s0, exec_lo
	v_cmpx_eq_u32_e32 0, v3
	s_cbranch_execz .LBB1_16
; %bb.15:
	v_mov_b32_e32 v0, 0
	global_store_b64 v0, v[1:2], s[6:7]
.LBB1_16:
	s_nop 0
	s_sendmsg sendmsg(MSG_DEALLOC_VGPRS)
	s_endpgm
	.section	.rodata,"a",@progbits
	.p2align	6, 0x0
	.amdhsa_kernel _Z11reduceFinalPKdPdm
		.amdhsa_group_segment_fixed_size 2048
		.amdhsa_private_segment_fixed_size 0
		.amdhsa_kernarg_size 280
		.amdhsa_user_sgpr_count 15
		.amdhsa_user_sgpr_dispatch_ptr 0
		.amdhsa_user_sgpr_queue_ptr 0
		.amdhsa_user_sgpr_kernarg_segment_ptr 1
		.amdhsa_user_sgpr_dispatch_id 0
		.amdhsa_user_sgpr_private_segment_size 0
		.amdhsa_wavefront_size32 1
		.amdhsa_uses_dynamic_stack 0
		.amdhsa_enable_private_segment 0
		.amdhsa_system_sgpr_workgroup_id_x 1
		.amdhsa_system_sgpr_workgroup_id_y 0
		.amdhsa_system_sgpr_workgroup_id_z 0
		.amdhsa_system_sgpr_workgroup_info 0
		.amdhsa_system_vgpr_workitem_id 2
		.amdhsa_next_free_vgpr 10
		.amdhsa_next_free_sgpr 16
		.amdhsa_reserve_vcc 1
		.amdhsa_float_round_mode_32 0
		.amdhsa_float_round_mode_16_64 0
		.amdhsa_float_denorm_mode_32 3
		.amdhsa_float_denorm_mode_16_64 3
		.amdhsa_dx10_clamp 1
		.amdhsa_ieee_mode 1
		.amdhsa_fp16_overflow 0
		.amdhsa_workgroup_processor_mode 1
		.amdhsa_memory_ordered 1
		.amdhsa_forward_progress 0
		.amdhsa_shared_vgpr_count 0
		.amdhsa_exception_fp_ieee_invalid_op 0
		.amdhsa_exception_fp_denorm_src 0
		.amdhsa_exception_fp_ieee_div_zero 0
		.amdhsa_exception_fp_ieee_overflow 0
		.amdhsa_exception_fp_ieee_underflow 0
		.amdhsa_exception_fp_ieee_inexact 0
		.amdhsa_exception_int_div_zero 0
	.end_amdhsa_kernel
	.text
.Lfunc_end1:
	.size	_Z11reduceFinalPKdPdm, .Lfunc_end1-_Z11reduceFinalPKdPdm
                                        ; -- End function
	.section	.AMDGPU.csdata,"",@progbits
; Kernel info:
; codeLenInByte = 896
; NumSgprs: 18
; NumVgprs: 10
; ScratchSize: 0
; MemoryBound: 0
; FloatMode: 240
; IeeeMode: 1
; LDSByteSize: 2048 bytes/workgroup (compile time only)
; SGPRBlocks: 2
; VGPRBlocks: 1
; NumSGPRsForWavesPerEU: 18
; NumVGPRsForWavesPerEU: 10
; Occupancy: 16
; WaveLimiterHint : 0
; COMPUTE_PGM_RSRC2:SCRATCH_EN: 0
; COMPUTE_PGM_RSRC2:USER_SGPR: 15
; COMPUTE_PGM_RSRC2:TRAP_HANDLER: 0
; COMPUTE_PGM_RSRC2:TGID_X_EN: 1
; COMPUTE_PGM_RSRC2:TGID_Y_EN: 0
; COMPUTE_PGM_RSRC2:TGID_Z_EN: 0
; COMPUTE_PGM_RSRC2:TIDIG_COMP_CNT: 2
	.text
	.p2alignl 7, 3214868480
	.fill 96, 4, 3214868480
	.type	__hip_cuid_3780aadba0f53628,@object ; @__hip_cuid_3780aadba0f53628
	.section	.bss,"aw",@nobits
	.globl	__hip_cuid_3780aadba0f53628
__hip_cuid_3780aadba0f53628:
	.byte	0                               ; 0x0
	.size	__hip_cuid_3780aadba0f53628, 1

	.ident	"AMD clang version 19.0.0git (https://github.com/RadeonOpenCompute/llvm-project roc-6.4.0 25133 c7fe45cf4b819c5991fe208aaa96edf142730f1d)"
	.section	".note.GNU-stack","",@progbits
	.addrsig
	.addrsig_sym __hip_cuid_3780aadba0f53628
	.amdgpu_metadata
---
amdhsa.kernels:
  - .args:
      - .address_space:  global
        .offset:         0
        .size:           8
        .value_kind:     global_buffer
      - .address_space:  global
        .offset:         8
        .size:           8
        .value_kind:     global_buffer
      - .offset:         16
        .size:           8
        .value_kind:     by_value
      - .offset:         24
        .size:           8
        .value_kind:     by_value
      - .offset:         32
        .size:           4
        .value_kind:     hidden_block_count_x
      - .offset:         36
        .size:           4
        .value_kind:     hidden_block_count_y
      - .offset:         40
        .size:           4
        .value_kind:     hidden_block_count_z
      - .offset:         44
        .size:           2
        .value_kind:     hidden_group_size_x
      - .offset:         46
        .size:           2
        .value_kind:     hidden_group_size_y
      - .offset:         48
        .size:           2
        .value_kind:     hidden_group_size_z
      - .offset:         50
        .size:           2
        .value_kind:     hidden_remainder_x
      - .offset:         52
        .size:           2
        .value_kind:     hidden_remainder_y
      - .offset:         54
        .size:           2
        .value_kind:     hidden_remainder_z
      - .offset:         72
        .size:           8
        .value_kind:     hidden_global_offset_x
      - .offset:         80
        .size:           8
        .value_kind:     hidden_global_offset_y
      - .offset:         88
        .size:           8
        .value_kind:     hidden_global_offset_z
      - .offset:         96
        .size:           2
        .value_kind:     hidden_grid_dims
    .group_segment_fixed_size: 2048
    .kernarg_segment_align: 8
    .kernarg_segment_size: 288
    .language:       OpenCL C
    .language_version:
      - 2
      - 0
    .max_flat_workgroup_size: 1024
    .name:           _Z6reducePKfPdmm
    .private_segment_fixed_size: 0
    .sgpr_count:     20
    .sgpr_spill_count: 0
    .symbol:         _Z6reducePKfPdmm.kd
    .uniform_work_group_size: 1
    .uses_dynamic_stack: false
    .vgpr_count:     10
    .vgpr_spill_count: 0
    .wavefront_size: 32
    .workgroup_processor_mode: 1
  - .args:
      - .address_space:  global
        .offset:         0
        .size:           8
        .value_kind:     global_buffer
      - .address_space:  global
        .offset:         8
        .size:           8
        .value_kind:     global_buffer
      - .offset:         16
        .size:           8
        .value_kind:     by_value
      - .offset:         24
        .size:           4
        .value_kind:     hidden_block_count_x
      - .offset:         28
        .size:           4
        .value_kind:     hidden_block_count_y
      - .offset:         32
        .size:           4
        .value_kind:     hidden_block_count_z
      - .offset:         36
        .size:           2
        .value_kind:     hidden_group_size_x
      - .offset:         38
        .size:           2
        .value_kind:     hidden_group_size_y
      - .offset:         40
        .size:           2
        .value_kind:     hidden_group_size_z
      - .offset:         42
        .size:           2
        .value_kind:     hidden_remainder_x
      - .offset:         44
        .size:           2
        .value_kind:     hidden_remainder_y
      - .offset:         46
        .size:           2
        .value_kind:     hidden_remainder_z
      - .offset:         64
        .size:           8
        .value_kind:     hidden_global_offset_x
      - .offset:         72
        .size:           8
        .value_kind:     hidden_global_offset_y
      - .offset:         80
        .size:           8
        .value_kind:     hidden_global_offset_z
      - .offset:         88
        .size:           2
        .value_kind:     hidden_grid_dims
    .group_segment_fixed_size: 2048
    .kernarg_segment_align: 8
    .kernarg_segment_size: 280
    .language:       OpenCL C
    .language_version:
      - 2
      - 0
    .max_flat_workgroup_size: 1024
    .name:           _Z11reduceFinalPKdPdm
    .private_segment_fixed_size: 0
    .sgpr_count:     18
    .sgpr_spill_count: 0
    .symbol:         _Z11reduceFinalPKdPdm.kd
    .uniform_work_group_size: 1
    .uses_dynamic_stack: false
    .vgpr_count:     10
    .vgpr_spill_count: 0
    .wavefront_size: 32
    .workgroup_processor_mode: 1
amdhsa.target:   amdgcn-amd-amdhsa--gfx1100
amdhsa.version:
  - 1
  - 2
...

	.end_amdgpu_metadata
